;; amdgpu-corpus repo=ROCm/rocFFT kind=compiled arch=gfx906 opt=O3
	.text
	.amdgcn_target "amdgcn-amd-amdhsa--gfx906"
	.amdhsa_code_object_version 6
	.protected	fft_rtc_fwd_len96_factors_3_4_8_wgs_192_tpt_8_dim2_sp_ip_CI_sbcc_twdbase8_2step_dirReg ; -- Begin function fft_rtc_fwd_len96_factors_3_4_8_wgs_192_tpt_8_dim2_sp_ip_CI_sbcc_twdbase8_2step_dirReg
	.globl	fft_rtc_fwd_len96_factors_3_4_8_wgs_192_tpt_8_dim2_sp_ip_CI_sbcc_twdbase8_2step_dirReg
	.p2align	8
	.type	fft_rtc_fwd_len96_factors_3_4_8_wgs_192_tpt_8_dim2_sp_ip_CI_sbcc_twdbase8_2step_dirReg,@function
fft_rtc_fwd_len96_factors_3_4_8_wgs_192_tpt_8_dim2_sp_ip_CI_sbcc_twdbase8_2step_dirReg: ; @fft_rtc_fwd_len96_factors_3_4_8_wgs_192_tpt_8_dim2_sp_ip_CI_sbcc_twdbase8_2step_dirReg
; %bb.0:
	s_load_dwordx4 s[0:3], s[4:5], 0x10
	s_mov_b32 s7, 0
	s_mov_b64 s[20:21], -1
	s_waitcnt lgkmcnt(0)
	s_load_dwordx2 s[16:17], s[0:1], 0x8
	s_load_dwordx2 s[14:15], s[4:5], 0x50
	;; [unrolled: 1-line block ×3, first 2 shown]
	s_waitcnt lgkmcnt(0)
	s_add_u32 s0, s16, -1
	s_addc_u32 s1, s17, -1
	s_add_u32 s8, 0, 0xaaaa0000
	s_addc_u32 s9, 0, 42
	s_add_i32 s9, s9, 0xaaaaa80
	s_mul_hi_u32 s19, s8, 0xffffffe8
	s_sub_i32 s19, s19, s8
	s_mul_i32 s22, s9, 0xffffffe8
	s_mul_i32 s10, s8, 0xffffffe8
	s_add_i32 s19, s19, s22
	s_mul_hi_u32 s11, s9, s10
	s_mul_i32 s18, s9, s10
	s_mul_i32 s23, s8, s19
	s_mul_hi_u32 s10, s8, s10
	s_mul_hi_u32 s22, s8, s19
	s_add_u32 s10, s10, s23
	s_addc_u32 s22, 0, s22
	s_add_u32 s10, s10, s18
	s_mul_hi_u32 s23, s9, s19
	s_addc_u32 s10, s22, s11
	s_addc_u32 s11, s23, 0
	s_mul_i32 s18, s9, s19
	s_add_u32 s10, s10, s18
	v_mov_b32_e32 v1, s10
	s_addc_u32 s11, 0, s11
	v_add_co_u32_e32 v1, vcc, s8, v1
	s_cmp_lg_u64 vcc, 0
	s_addc_u32 s8, s9, s11
	v_readfirstlane_b32 s11, v1
	s_mul_i32 s10, s0, s8
	s_mul_hi_u32 s18, s0, s11
	s_mul_hi_u32 s9, s0, s8
	s_add_u32 s10, s18, s10
	s_addc_u32 s9, 0, s9
	s_mul_hi_u32 s19, s1, s11
	s_mul_i32 s11, s1, s11
	s_add_u32 s10, s10, s11
	s_mul_hi_u32 s18, s1, s8
	s_addc_u32 s9, s9, s19
	s_addc_u32 s10, s18, 0
	s_mul_i32 s8, s1, s8
	s_add_u32 s8, s9, s8
	s_addc_u32 s9, 0, s10
	s_add_u32 s10, s8, 1
	s_addc_u32 s11, s9, 0
	s_add_u32 s18, s8, 2
	s_mul_i32 s22, s9, 24
	s_mul_hi_u32 s23, s8, 24
	s_addc_u32 s19, s9, 0
	s_add_i32 s23, s23, s22
	s_mul_i32 s22, s8, 24
	v_mov_b32_e32 v1, s22
	v_sub_co_u32_e32 v1, vcc, s0, v1
	s_cmp_lg_u64 vcc, 0
	s_subb_u32 s0, s1, s23
	v_subrev_co_u32_e32 v2, vcc, 24, v1
	s_cmp_lg_u64 vcc, 0
	s_subb_u32 s1, s0, 0
	v_readfirstlane_b32 s22, v2
	s_cmp_gt_u32 s22, 23
	s_cselect_b32 s22, -1, 0
	s_cmp_eq_u32 s1, 0
	s_cselect_b32 s1, s22, -1
	s_cmp_lg_u32 s1, 0
	s_cselect_b32 s1, s18, s10
	s_cselect_b32 s10, s19, s11
	v_readfirstlane_b32 s11, v1
	s_cmp_gt_u32 s11, 23
	s_cselect_b32 s11, -1, 0
	s_cmp_eq_u32 s0, 0
	s_cselect_b32 s0, s11, -1
	s_cmp_lg_u32 s0, 0
	s_cselect_b32 s0, s1, s8
	s_cselect_b32 s9, s10, s9
	s_add_u32 s0, s0, 1
	s_addc_u32 s1, s9, 0
	v_mov_b32_e32 v2, s1
	v_mov_b32_e32 v1, s0
	v_cmp_lt_u64_e32 vcc, s[6:7], v[1:2]
	s_mov_b64 s[22:23], 0
	s_cbranch_vccnz .LBB0_2
; %bb.1:
	v_cvt_f32_u32_e32 v1, s0
	s_sub_i32 s7, 0, s0
	v_rcp_iflag_f32_e32 v1, v1
	v_mul_f32_e32 v1, 0x4f7ffffe, v1
	v_cvt_u32_f32_e32 v1, v1
	v_readfirstlane_b32 s8, v1
	s_mul_i32 s7, s7, s8
	s_mul_hi_u32 s7, s8, s7
	s_add_i32 s8, s8, s7
	s_mul_hi_u32 s7, s6, s8
	s_mul_i32 s9, s7, s0
	s_sub_i32 s9, s6, s9
	s_add_i32 s8, s7, 1
	s_sub_i32 s10, s9, s0
	s_cmp_ge_u32 s9, s0
	s_cselect_b32 s7, s8, s7
	s_cselect_b32 s9, s10, s9
	s_add_i32 s8, s7, 1
	s_cmp_ge_u32 s9, s0
	s_cselect_b32 s22, s8, s7
.LBB0_2:
	s_mul_i32 s1, s22, s1
	s_mul_hi_u32 s7, s22, s0
	s_load_dwordx4 s[8:11], s[2:3], 0x8
	s_add_i32 s7, s7, s1
	s_mul_i32 s0, s22, s0
	s_sub_u32 s0, s6, s0
	s_subb_u32 s1, 0, s7
	s_mul_i32 s1, s1, 24
	s_mul_hi_u32 s2, s0, 24
	s_mul_i32 s0, s0, 24
	s_add_i32 s1, s2, s1
	s_waitcnt lgkmcnt(0)
	s_mul_i32 s3, s0, s9
	s_mul_hi_u32 s6, s0, s8
	v_mul_u32_u24_e32 v1, 0xaab, v0
	s_mul_i32 s2, s1, s8
	s_add_i32 s3, s6, s3
	s_mul_i32 s6, s11, s22
	s_mul_hi_u32 s7, s10, s22
	v_lshrrev_b32_e32 v82, 16, v1
	s_add_i32 s3, s3, s2
	s_mul_i32 s2, s0, s8
	s_add_i32 s7, s7, s6
	s_mul_i32 s6, s10, s22
	v_mul_lo_u16_e32 v1, 24, v82
	s_add_u32 s6, s6, s2
	v_sub_u16_e32 v84, v0, v1
	s_addc_u32 s7, s7, s3
	v_mov_b32_e32 v1, s1
	v_add_co_u32_e32 v12, vcc, s0, v84
	s_load_dwordx2 s[18:19], s[4:5], 0x0
	v_addc_co_u32_e32 v13, vcc, 0, v1, vcc
	s_add_u32 s0, s0, 24
	v_mov_b32_e32 v1, s16
	s_addc_u32 s1, s1, 0
	v_mov_b32_e32 v2, s17
	v_cmp_gt_u64_e32 vcc, s[0:1], v[1:2]
	v_cmp_le_u64_e64 s[0:1], s[0:1], v[1:2]
	s_and_b64 vcc, exec, vcc
	v_or_b32_e32 v83, 32, v82
	v_add_u32_e32 v28, 8, v82
	v_or_b32_e32 v29, 16, v82
	v_add_u32_e32 v30, 24, v82
	s_cbranch_vccnz .LBB0_4
; %bb.3:
	v_mad_u64_u32 v[1:2], s[2:3], s8, v84, 0
	v_mad_u64_u32 v[3:4], s[2:3], s12, v82, 0
	v_add_u32_e32 v11, 8, v82
	v_or_b32_e32 v31, 16, v82
	v_mad_u64_u32 v[5:6], s[2:3], s9, v84, v[2:3]
	v_mov_b32_e32 v2, v4
	v_mad_u64_u32 v[6:7], s[2:3], s13, v82, v[2:3]
	s_lshl_b64 s[2:3], s[6:7], 3
	s_add_u32 s10, s14, s2
	s_addc_u32 s2, s15, s3
	v_mov_b32_e32 v2, v5
	v_mov_b32_e32 v4, v6
	v_mov_b32_e32 v7, s2
	v_mad_u64_u32 v[5:6], s[2:3], s12, v83, 0
	v_lshlrev_b64 v[1:2], 3, v[1:2]
	v_add_u32_e32 v32, 24, v82
	v_add_co_u32_e32 v9, vcc, s10, v1
	v_addc_co_u32_e32 v10, vcc, v7, v2, vcc
	v_lshlrev_b64 v[1:2], 3, v[3:4]
	v_mov_b32_e32 v3, v6
	v_mad_u64_u32 v[3:4], s[2:3], s13, v83, v[3:4]
	v_or_b32_e32 v4, 64, v82
	v_mad_u64_u32 v[7:8], s[2:3], s12, v4, 0
	v_mov_b32_e32 v6, v3
	v_add_co_u32_e32 v33, vcc, v9, v1
	v_mov_b32_e32 v3, v8
	v_mad_u64_u32 v[3:4], s[2:3], s13, v4, v[3:4]
	v_addc_co_u32_e32 v34, vcc, v10, v2, vcc
	v_lshlrev_b64 v[1:2], 3, v[5:6]
	v_mad_u64_u32 v[4:5], s[2:3], s12, v11, 0
	v_add_co_u32_e32 v35, vcc, v9, v1
	v_mov_b32_e32 v8, v3
	v_mov_b32_e32 v3, v5
	v_addc_co_u32_e32 v36, vcc, v10, v2, vcc
	v_lshlrev_b64 v[1:2], 3, v[7:8]
	v_mad_u64_u32 v[5:6], s[2:3], s13, v11, v[3:4]
	v_add_u32_e32 v8, 40, v82
	v_mad_u64_u32 v[6:7], s[2:3], s12, v8, 0
	v_add_co_u32_e32 v37, vcc, v9, v1
	v_mov_b32_e32 v3, v7
	v_addc_co_u32_e32 v38, vcc, v10, v2, vcc
	v_lshlrev_b64 v[1:2], 3, v[4:5]
	v_mad_u64_u32 v[3:4], s[2:3], s13, v8, v[3:4]
	v_add_u32_e32 v8, 0x48, v82
	v_mad_u64_u32 v[4:5], s[2:3], s12, v8, 0
	v_add_co_u32_e32 v39, vcc, v9, v1
	v_mov_b32_e32 v7, v3
	v_mov_b32_e32 v3, v5
	v_addc_co_u32_e32 v40, vcc, v10, v2, vcc
	v_lshlrev_b64 v[1:2], 3, v[6:7]
	v_mad_u64_u32 v[5:6], s[2:3], s13, v8, v[3:4]
	v_mad_u64_u32 v[6:7], s[2:3], s12, v31, 0
	v_add_co_u32_e32 v41, vcc, v9, v1
	v_mov_b32_e32 v3, v7
	v_addc_co_u32_e32 v42, vcc, v10, v2, vcc
	v_lshlrev_b64 v[1:2], 3, v[4:5]
	v_mad_u64_u32 v[3:4], s[2:3], s13, v31, v[3:4]
	v_or_b32_e32 v8, 48, v82
	v_mad_u64_u32 v[4:5], s[2:3], s12, v8, 0
	v_add_co_u32_e32 v43, vcc, v9, v1
	v_mov_b32_e32 v7, v3
	v_mov_b32_e32 v3, v5
	v_addc_co_u32_e32 v44, vcc, v10, v2, vcc
	v_lshlrev_b64 v[1:2], 3, v[6:7]
	v_mad_u64_u32 v[5:6], s[2:3], s13, v8, v[3:4]
	v_or_b32_e32 v8, 0x50, v82
	v_mad_u64_u32 v[6:7], s[2:3], s12, v8, 0
	v_add_co_u32_e32 v45, vcc, v9, v1
	v_mov_b32_e32 v3, v7
	v_addc_co_u32_e32 v46, vcc, v10, v2, vcc
	v_lshlrev_b64 v[1:2], 3, v[4:5]
	v_mad_u64_u32 v[3:4], s[2:3], s13, v8, v[3:4]
	v_mad_u64_u32 v[4:5], s[2:3], s12, v32, 0
	v_add_co_u32_e32 v47, vcc, v9, v1
	v_mov_b32_e32 v7, v3
	v_mov_b32_e32 v3, v5
	v_addc_co_u32_e32 v48, vcc, v10, v2, vcc
	v_lshlrev_b64 v[1:2], 3, v[6:7]
	v_mad_u64_u32 v[5:6], s[2:3], s13, v32, v[3:4]
	v_add_u32_e32 v8, 56, v82
	v_mad_u64_u32 v[6:7], s[2:3], s12, v8, 0
	v_add_co_u32_e32 v49, vcc, v9, v1
	v_mov_b32_e32 v3, v7
	v_addc_co_u32_e32 v50, vcc, v10, v2, vcc
	v_lshlrev_b64 v[1:2], 3, v[4:5]
	v_mad_u64_u32 v[3:4], s[2:3], s13, v8, v[3:4]
	v_add_u32_e32 v8, 0x58, v82
	v_mad_u64_u32 v[4:5], s[2:3], s12, v8, 0
	v_add_co_u32_e32 v51, vcc, v9, v1
	v_mov_b32_e32 v7, v3
	v_mov_b32_e32 v3, v5
	v_addc_co_u32_e32 v52, vcc, v10, v2, vcc
	v_lshlrev_b64 v[1:2], 3, v[6:7]
	v_mad_u64_u32 v[5:6], s[2:3], s13, v8, v[3:4]
	v_add_co_u32_e32 v53, vcc, v9, v1
	v_addc_co_u32_e32 v54, vcc, v10, v2, vcc
	v_lshlrev_b64 v[1:2], 3, v[4:5]
	v_add_co_u32_e32 v55, vcc, v9, v1
	v_addc_co_u32_e32 v56, vcc, v10, v2, vcc
	global_load_dwordx2 v[3:4], v[33:34], off
	global_load_dwordx2 v[7:8], v[35:36], off
	;; [unrolled: 1-line block ×12, first 2 shown]
	s_cbranch_execz .LBB0_5
	s_branch .LBB0_10
.LBB0_4:
                                        ; implicit-def: $vgpr16
                                        ; implicit-def: $vgpr24
                                        ; implicit-def: $vgpr22
                                        ; implicit-def: $vgpr14
                                        ; implicit-def: $vgpr26
                                        ; implicit-def: $vgpr5
                                        ; implicit-def: $vgpr18
                                        ; implicit-def: $vgpr20
                                        ; implicit-def: $vgpr1
                                        ; implicit-def: $vgpr11
                                        ; implicit-def: $vgpr31
                                        ; implicit-def: $vgpr32
                                        ; implicit-def: $vgpr9
                                        ; implicit-def: $vgpr7
                                        ; implicit-def: $vgpr3
	s_andn2_b64 vcc, exec, s[20:21]
	s_cbranch_vccnz .LBB0_10
.LBB0_5:
	v_cmp_le_u64_e32 vcc, s[16:17], v[12:13]
                                        ; implicit-def: $vgpr11
                                        ; implicit-def: $vgpr31
                                        ; implicit-def: $vgpr32
	s_and_saveexec_b64 s[2:3], vcc
	s_xor_b64 s[2:3], exec, s[2:3]
; %bb.6:
	v_add_u32_e32 v11, 8, v82
	v_or_b32_e32 v31, 16, v82
	v_add_u32_e32 v32, 24, v82
                                        ; implicit-def: $vgpr28
                                        ; implicit-def: $vgpr29
                                        ; implicit-def: $vgpr30
; %bb.7:
	s_or_saveexec_b64 s[2:3], s[2:3]
                                        ; implicit-def: $vgpr16
                                        ; implicit-def: $vgpr24
                                        ; implicit-def: $vgpr22
                                        ; implicit-def: $vgpr14
                                        ; implicit-def: $vgpr26
                                        ; implicit-def: $vgpr5
                                        ; implicit-def: $vgpr18
                                        ; implicit-def: $vgpr20
                                        ; implicit-def: $vgpr1
                                        ; implicit-def: $vgpr9
                                        ; implicit-def: $vgpr7
                                        ; implicit-def: $vgpr3
	s_xor_b64 exec, exec, s[2:3]
	s_cbranch_execz .LBB0_9
; %bb.8:
	s_waitcnt vmcnt(8)
	v_mad_u64_u32 v[1:2], s[10:11], s8, v84, 0
	v_mad_u64_u32 v[3:4], s[10:11], s12, v82, 0
	s_waitcnt vmcnt(0)
	v_add_u32_e32 v24, 0x48, v82
	v_mad_u64_u32 v[5:6], s[10:11], s9, v84, v[2:3]
	v_mov_b32_e32 v2, v4
	v_mad_u64_u32 v[6:7], s[10:11], s13, v82, v[2:3]
	s_lshl_b64 s[10:11], s[6:7], 3
	s_add_u32 s20, s14, s10
	s_addc_u32 s10, s15, s11
	v_mov_b32_e32 v2, v5
	v_mov_b32_e32 v4, v6
	;; [unrolled: 1-line block ×3, first 2 shown]
	v_mad_u64_u32 v[5:6], s[10:11], s12, v83, 0
	v_lshlrev_b64 v[1:2], 3, v[1:2]
	v_mad_u64_u32 v[22:23], s[10:11], s12, v24, 0
	v_add_co_u32_e32 v37, vcc, s20, v1
	v_addc_co_u32_e32 v38, vcc, v7, v2, vcc
	v_lshlrev_b64 v[1:2], 3, v[3:4]
	v_mov_b32_e32 v3, v6
	v_mad_u64_u32 v[3:4], s[10:11], s13, v83, v[3:4]
	v_or_b32_e32 v4, 64, v82
	v_mad_u64_u32 v[7:8], s[10:11], s12, v4, 0
	v_mov_b32_e32 v6, v3
	v_add_co_u32_e32 v14, vcc, v37, v1
	v_mov_b32_e32 v3, v8
	v_mad_u64_u32 v[3:4], s[10:11], s13, v4, v[3:4]
	v_addc_co_u32_e32 v15, vcc, v38, v2, vcc
	v_lshlrev_b64 v[1:2], 3, v[5:6]
	v_mad_u64_u32 v[4:5], s[10:11], s12, v28, 0
	v_mov_b32_e32 v8, v3
	v_add_co_u32_e32 v16, vcc, v37, v1
	v_mov_b32_e32 v3, v5
	v_mad_u64_u32 v[5:6], s[10:11], s13, v28, v[3:4]
	v_addc_co_u32_e32 v17, vcc, v38, v2, vcc
	v_lshlrev_b64 v[1:2], 3, v[7:8]
	v_add_u32_e32 v3, 40, v82
	v_add_co_u32_e32 v18, vcc, v37, v1
	v_addc_co_u32_e32 v19, vcc, v38, v2, vcc
	v_lshlrev_b64 v[1:2], 3, v[4:5]
	v_mad_u64_u32 v[5:6], s[10:11], s12, v3, 0
	v_add_co_u32_e32 v20, vcc, v37, v1
	v_mov_b32_e32 v1, v6
	v_mad_u64_u32 v[6:7], s[10:11], s13, v3, v[1:2]
	v_mov_b32_e32 v11, v23
	v_addc_co_u32_e32 v21, vcc, v38, v2, vcc
	global_load_dwordx2 v[3:4], v[14:15], off
	global_load_dwordx2 v[7:8], v[16:17], off
	;; [unrolled: 1-line block ×4, first 2 shown]
	v_mad_u64_u32 v[14:15], s[10:11], s13, v24, v[11:12]
	v_mad_u64_u32 v[15:16], s[10:11], s12, v29, 0
	v_lshlrev_b64 v[5:6], 3, v[5:6]
	v_mov_b32_e32 v23, v14
	v_mov_b32_e32 v11, v16
	v_mad_u64_u32 v[16:17], s[10:11], s13, v29, v[11:12]
	v_or_b32_e32 v14, 48, v82
	v_mad_u64_u32 v[17:18], s[10:11], s12, v14, 0
	v_add_co_u32_e32 v24, vcc, v37, v5
	v_addc_co_u32_e32 v25, vcc, v38, v6, vcc
	v_lshlrev_b64 v[5:6], 3, v[22:23]
	v_mov_b32_e32 v11, v18
	v_add_co_u32_e32 v22, vcc, v37, v5
	v_addc_co_u32_e32 v23, vcc, v38, v6, vcc
	v_lshlrev_b64 v[5:6], 3, v[15:16]
	v_mad_u64_u32 v[14:15], s[10:11], s13, v14, v[11:12]
	v_or_b32_e32 v11, 0x50, v82
	v_add_co_u32_e32 v26, vcc, v37, v5
	v_mov_b32_e32 v18, v14
	v_mad_u64_u32 v[14:15], s[10:11], s12, v11, 0
	v_mad_u64_u32 v[33:34], s[10:11], s12, v30, 0
	v_addc_co_u32_e32 v27, vcc, v38, v6, vcc
	v_lshlrev_b64 v[5:6], 3, v[17:18]
	v_add_co_u32_e32 v31, vcc, v37, v5
	v_mov_b32_e32 v5, v15
	v_mad_u64_u32 v[15:16], s[10:11], s13, v11, v[5:6]
	v_mov_b32_e32 v11, v34
	v_addc_co_u32_e32 v32, vcc, v38, v6, vcc
	global_load_dwordx2 v[20:21], v[24:25], off
	global_load_dwordx2 v[18:19], v[22:23], off
	;; [unrolled: 1-line block ×4, first 2 shown]
	v_mad_u64_u32 v[22:23], s[10:11], s13, v30, v[11:12]
	v_add_u32_e32 v25, 56, v82
	v_mad_u64_u32 v[23:24], s[10:11], s12, v25, 0
	v_lshlrev_b64 v[14:15], 3, v[14:15]
	v_mov_b32_e32 v34, v22
	v_mov_b32_e32 v11, v24
	v_mad_u64_u32 v[24:25], s[10:11], s13, v25, v[11:12]
	v_add_u32_e32 v22, 0x58, v82
	v_mad_u64_u32 v[25:26], s[10:11], s12, v22, 0
	v_add_co_u32_e32 v31, vcc, v37, v14
	v_addc_co_u32_e32 v32, vcc, v38, v15, vcc
	v_lshlrev_b64 v[14:15], 3, v[33:34]
	v_mov_b32_e32 v11, v26
	v_add_co_u32_e32 v33, vcc, v37, v14
	v_addc_co_u32_e32 v34, vcc, v38, v15, vcc
	v_lshlrev_b64 v[14:15], 3, v[23:24]
	v_mad_u64_u32 v[22:23], s[10:11], s13, v22, v[11:12]
	v_add_co_u32_e32 v35, vcc, v37, v14
	v_mov_b32_e32 v26, v22
	v_addc_co_u32_e32 v36, vcc, v38, v15, vcc
	v_lshlrev_b64 v[14:15], 3, v[25:26]
	v_mov_b32_e32 v11, v28
	v_add_co_u32_e32 v37, vcc, v37, v14
	v_addc_co_u32_e32 v38, vcc, v38, v15, vcc
	global_load_dwordx2 v[26:27], v[31:32], off
	global_load_dwordx2 v[14:15], v[33:34], off
	;; [unrolled: 1-line block ×4, first 2 shown]
	v_mov_b32_e32 v31, v29
	v_mov_b32_e32 v32, v30
.LBB0_9:
	s_or_b64 exec, exec, s[2:3]
.LBB0_10:
	s_waitcnt vmcnt(9)
	v_add_f32_e32 v29, v7, v9
	v_add_f32_e32 v28, v3, v7
	v_fmac_f32_e32 v3, -0.5, v29
	v_sub_f32_e32 v29, v8, v10
	v_mov_b32_e32 v33, v3
	v_fmac_f32_e32 v33, 0x3f5db3d7, v29
	v_fmac_f32_e32 v3, 0xbf5db3d7, v29
	v_add_f32_e32 v29, v4, v8
	v_add_f32_e32 v8, v8, v10
	v_fmac_f32_e32 v4, -0.5, v8
	v_sub_f32_e32 v7, v7, v9
	v_mov_b32_e32 v34, v4
	s_waitcnt vmcnt(6)
	v_add_f32_e32 v8, v20, v18
	v_fmac_f32_e32 v34, 0xbf5db3d7, v7
	v_fmac_f32_e32 v4, 0x3f5db3d7, v7
	v_add_f32_e32 v7, v1, v20
	v_fmac_f32_e32 v1, -0.5, v8
	v_add_f32_e32 v28, v28, v9
	v_add_f32_e32 v29, v29, v10
	v_sub_f32_e32 v8, v21, v19
	v_mov_b32_e32 v9, v1
	v_add_f32_e32 v10, v21, v19
	v_fmac_f32_e32 v9, 0x3f5db3d7, v8
	v_fmac_f32_e32 v1, 0xbf5db3d7, v8
	v_add_f32_e32 v8, v2, v21
	v_fmac_f32_e32 v2, -0.5, v10
	v_add_f32_e32 v7, v7, v18
	v_add_f32_e32 v8, v8, v19
	v_sub_f32_e32 v18, v20, v18
	v_mov_b32_e32 v10, v2
	s_waitcnt vmcnt(3)
	v_add_f32_e32 v19, v26, v16
	v_fmac_f32_e32 v10, 0xbf5db3d7, v18
	v_fmac_f32_e32 v2, 0x3f5db3d7, v18
	v_add_f32_e32 v18, v5, v16
	v_fmac_f32_e32 v5, -0.5, v19
	v_sub_f32_e32 v19, v17, v27
	v_mov_b32_e32 v20, v5
	v_fmac_f32_e32 v20, 0x3f5db3d7, v19
	v_fmac_f32_e32 v5, 0xbf5db3d7, v19
	v_add_f32_e32 v19, v6, v17
	v_add_f32_e32 v17, v27, v17
	v_fmac_f32_e32 v6, -0.5, v17
	v_sub_f32_e32 v16, v16, v26
	v_mov_b32_e32 v21, v6
	s_waitcnt vmcnt(0)
	v_add_f32_e32 v17, v22, v24
	v_fmac_f32_e32 v21, 0xbf5db3d7, v16
	v_fmac_f32_e32 v6, 0x3f5db3d7, v16
	v_add_f32_e32 v16, v14, v22
	v_fmac_f32_e32 v14, -0.5, v17
	v_add_f32_e32 v18, v26, v18
	v_sub_f32_e32 v17, v23, v25
	v_mov_b32_e32 v26, v14
	v_fmac_f32_e32 v26, 0x3f5db3d7, v17
	v_fmac_f32_e32 v14, 0xbf5db3d7, v17
	v_add_f32_e32 v17, v15, v23
	v_add_f32_e32 v23, v23, v25
	v_fmac_f32_e32 v15, -0.5, v23
	v_add_f32_e32 v19, v27, v19
	v_sub_f32_e32 v22, v22, v24
	v_mov_b32_e32 v27, v15
	v_fmac_f32_e32 v27, 0xbf5db3d7, v22
	v_fmac_f32_e32 v15, 0x3f5db3d7, v22
	v_mul_u32_u24_e32 v22, 0x240, v82
	v_lshlrev_b32_e32 v41, 3, v84
	v_add3_u32 v22, 0, v22, v41
	ds_write2_b64 v22, v[28:29], v[33:34] offset1:24
	ds_write_b64 v22, v[3:4] offset:384
	v_mul_i32_i24_e32 v3, 0x240, v11
	v_add3_u32 v3, 0, v3, v41
	ds_write2_b64 v3, v[7:8], v[9:10] offset1:24
	ds_write_b64 v3, v[1:2] offset:384
	v_mul_i32_i24_e32 v1, 0x240, v31
	;; [unrolled: 4-line block ×3, first 2 shown]
	v_mul_lo_u16_e32 v42, 0x56, v82
	v_mov_b32_e32 v36, 3
	v_add3_u32 v18, 0, v1, v41
	v_mul_lo_u16_sdwa v1, v42, v36 dst_sel:DWORD dst_unused:UNUSED_PAD src0_sel:BYTE_1 src1_sel:DWORD
	v_sub_u16_e32 v43, v82, v1
	s_movk_i32 s2, 0xab
	v_mul_u32_u24_sdwa v1, v43, v36 dst_sel:DWORD dst_unused:UNUSED_PAD src0_sel:BYTE_0 src1_sel:DWORD
	v_mul_lo_u16_sdwa v37, v11, s2 dst_sel:DWORD dst_unused:UNUSED_PAD src0_sel:BYTE_0 src1_sel:DWORD
	v_add_f32_e32 v16, v16, v24
	v_add_f32_e32 v17, v17, v25
	v_lshlrev_b32_e32 v5, 3, v1
	v_lshrrev_b16_e32 v44, 9, v37
	ds_write2_b64 v18, v[16:17], v[26:27] offset1:24
	ds_write_b64 v18, v[14:15] offset:384
	s_waitcnt lgkmcnt(0)
	s_barrier
	global_load_dwordx4 v[1:4], v5, s[18:19]
	global_load_dwordx2 v[9:10], v5, s[18:19] offset:16
	v_mul_lo_u16_e32 v5, 3, v44
	v_sub_u16_e32 v45, v11, v5
	v_mul_u32_u24_sdwa v5, v45, v36 dst_sel:DWORD dst_unused:UNUSED_PAD src0_sel:BYTE_0 src1_sel:DWORD
	v_lshlrev_b32_e32 v19, 3, v5
	v_mul_lo_u16_sdwa v5, v31, s2 dst_sel:DWORD dst_unused:UNUSED_PAD src0_sel:BYTE_0 src1_sel:DWORD
	global_load_dwordx2 v[26:27], v19, s[18:19] offset:16
	v_lshrrev_b16_e32 v46, 9, v5
	v_mul_lo_u16_e32 v5, 3, v46
	v_sub_u16_e32 v47, v31, v5
	v_mul_u32_u24_sdwa v5, v47, v36 dst_sel:DWORD dst_unused:UNUSED_PAD src0_sel:BYTE_0 src1_sel:DWORD
	v_lshlrev_b32_e32 v20, 3, v5
	global_load_dwordx4 v[5:8], v20, s[18:19]
	global_load_dwordx4 v[14:17], v19, s[18:19]
	global_load_dwordx2 v[29:30], v20, s[18:19] offset:16
	s_movk_i32 s2, 0xfe80
	v_mad_i32_i24 v28, v82, s2, v22
	v_mad_i32_i24 v48, v32, s2, v18
	v_mul_i32_i24_e32 v32, 0xc0, v11
	ds_read2st64_b64 v[18:21], v28 offset0:15 offset1:18
	ds_read2st64_b64 v[22:25], v28 offset0:27 offset1:30
	v_add3_u32 v38, 0, v32, v41
	ds_read_b64 v[32:33], v48
	v_mul_i32_i24_e32 v31, 0xc0, v31
	v_add3_u32 v31, 0, v31, v41
	ds_read_b64 v[34:35], v31
	ds_read_b64 v[39:40], v38
	s_movk_i32 s2, 0x60
	v_cmp_gt_u32_e64 s[2:3], s2, v0
	s_waitcnt vmcnt(5) lgkmcnt(2)
	v_mul_f32_e32 v31, v2, v33
	v_fma_f32 v31, v1, v32, -v31
	v_mul_f32_e32 v32, v2, v32
	v_fmac_f32_e32 v32, v1, v33
	v_mul_f32_e32 v1, v4, v21
	v_fma_f32 v33, v3, v20, -v1
	v_mul_f32_e32 v20, v4, v20
	s_waitcnt vmcnt(4)
	v_mul_f32_e32 v1, v10, v23
	v_fmac_f32_e32 v20, v3, v21
	v_fma_f32 v21, v9, v22, -v1
	v_mul_f32_e32 v10, v10, v22
	s_waitcnt vmcnt(3)
	v_mul_f32_e32 v1, v25, v27
	v_fmac_f32_e32 v10, v9, v23
	v_fma_f32 v9, v24, v26, -v1
	ds_read2st64_b64 v[1:4], v28 offset0:21 offset1:24
	s_waitcnt vmcnt(2)
	v_mul_f32_e32 v23, v19, v6
	v_fma_f32 v49, v18, v5, -v23
	v_mul_f32_e32 v18, v18, v6
	v_fmac_f32_e32 v18, v19, v5
	s_waitcnt lgkmcnt(0)
	v_mul_f32_e32 v5, v4, v8
	v_mul_f32_e32 v50, v3, v8
	v_fma_f32 v19, v3, v7, -v5
	v_fmac_f32_e32 v50, v4, v7
	ds_read2st64_b64 v[3:6], v28 offset1:12
	s_waitcnt vmcnt(1)
	v_mul_f32_e32 v7, v2, v17
	v_mul_f32_e32 v17, v1, v17
	v_fma_f32 v23, v1, v16, -v7
	v_fmac_f32_e32 v17, v2, v16
	ds_read_b64 v[1:2], v28 offset:16896
	s_waitcnt lgkmcnt(1)
	v_mul_f32_e32 v7, v15, v6
	v_mul_f32_e32 v22, v24, v27
	v_fma_f32 v16, v14, v5, -v7
	v_mul_f32_e32 v15, v15, v5
	v_fmac_f32_e32 v22, v25, v26
	v_fmac_f32_e32 v15, v14, v6
	v_sub_f32_e32 v8, v4, v20
	v_sub_f32_e32 v20, v39, v23
	;; [unrolled: 1-line block ×3, first 2 shown]
	s_waitcnt vmcnt(0) lgkmcnt(0)
	v_mul_f32_e32 v5, v2, v30
	v_mul_f32_e32 v30, v1, v30
	v_sub_f32_e32 v6, v31, v21
	v_fma_f32 v21, v39, 2.0, -v20
	v_sub_f32_e32 v24, v15, v22
	v_fma_f32 v9, v16, 2.0, -v25
	v_fma_f32 v14, v1, v29, -v5
	v_fmac_f32_e32 v30, v2, v29
	v_sub_f32_e32 v5, v32, v10
	v_sub_f32_e32 v17, v40, v17
	v_fma_f32 v10, v15, 2.0, -v24
	v_sub_f32_e32 v9, v21, v9
	v_sub_f32_e32 v24, v20, v24
	v_fma_f32 v22, v21, 2.0, -v9
	v_add_f32_e32 v25, v17, v25
	v_fma_f32 v26, v20, 2.0, -v24
	v_sub_f32_e32 v20, v34, v19
	v_sub_f32_e32 v21, v35, v50
	;; [unrolled: 1-line block ×4, first 2 shown]
	v_fma_f32 v23, v40, 2.0, -v17
	v_fma_f32 v27, v17, 2.0, -v25
	;; [unrolled: 1-line block ×6, first 2 shown]
	v_sub_f32_e32 v16, v15, v14
	v_sub_f32_e32 v17, v19, v17
	v_mov_b32_e32 v39, 12
	v_sub_f32_e32 v7, v3, v33
	v_fma_f32 v14, v15, 2.0, -v16
	v_fma_f32 v15, v19, 2.0, -v17
	v_add_f32_e32 v19, v21, v29
	v_mul_u32_u24_sdwa v29, v42, v39 dst_sel:DWORD dst_unused:UNUSED_PAD src0_sel:BYTE_1 src1_sel:DWORD
	v_fma_f32 v3, v3, 2.0, -v7
	v_fma_f32 v4, v4, 2.0, -v8
	;; [unrolled: 1-line block ×4, first 2 shown]
	v_or_b32_sdwa v29, v29, v43 dst_sel:DWORD dst_unused:UNUSED_PAD src0_sel:DWORD src1_sel:BYTE_0
	v_sub_f32_e32 v1, v3, v1
	v_sub_f32_e32 v2, v4, v2
	;; [unrolled: 1-line block ×3, first 2 shown]
	v_add_f32_e32 v6, v8, v6
	v_mul_u32_u24_e32 v29, 0xc0, v29
	v_fma_f32 v3, v3, 2.0, -v1
	v_fma_f32 v4, v4, 2.0, -v2
	;; [unrolled: 1-line block ×4, first 2 shown]
	v_add3_u32 v29, 0, v29, v41
	s_barrier
	ds_write2_b64 v29, v[3:4], v[7:8] offset1:72
	ds_write2_b64 v29, v[1:2], v[5:6] offset0:144 offset1:216
	v_mul_u32_u24_e32 v1, 12, v44
	v_or_b32_sdwa v1, v1, v45 dst_sel:DWORD dst_unused:UNUSED_PAD src0_sel:DWORD src1_sel:BYTE_0
	v_sub_f32_e32 v10, v23, v10
	v_mul_u32_u24_e32 v1, 0xc0, v1
	v_fma_f32 v23, v23, 2.0, -v10
	v_add3_u32 v1, 0, v1, v41
	ds_write2_b64 v1, v[22:23], v[26:27] offset1:72
	ds_write2_b64 v1, v[9:10], v[24:25] offset0:144 offset1:216
	v_mul_u32_u24_e32 v1, 12, v46
	v_or_b32_sdwa v1, v1, v47 dst_sel:DWORD dst_unused:UNUSED_PAD src0_sel:DWORD src1_sel:BYTE_0
	v_sub_f32_e32 v18, v20, v30
	v_mul_u32_u24_e32 v1, 0xc0, v1
	v_fma_f32 v20, v20, 2.0, -v18
	v_fma_f32 v21, v21, 2.0, -v19
	v_add3_u32 v1, 0, v1, v41
	ds_write2_b64 v1, v[14:15], v[20:21] offset1:72
	ds_write2_b64 v1, v[16:17], v[18:19] offset0:144 offset1:216
	v_add_u32_e32 v1, 0x100, v28
	s_waitcnt lgkmcnt(0)
	s_barrier
	ds_read2st64_b64 v[1:4], v1 offset0:4 offset1:13
	ds_read_b64 v[5:6], v28
	ds_read_b64 v[32:33], v28 offset:9216
	ds_read_b64 v[30:31], v28 offset:11520
	ds_read_b64 v[7:8], v28 offset:13824
	ds_read_b64 v[34:35], v48
	ds_read_b64 v[9:10], v28 offset:16128
                                        ; implicit-def: $vgpr23
                                        ; implicit-def: $vgpr25
                                        ; implicit-def: $vgpr27
                                        ; implicit-def: $vgpr29
	s_and_saveexec_b64 s[10:11], s[2:3]
	s_cbranch_execz .LBB0_12
; %bb.11:
	ds_read_b64 v[20:21], v28 offset:3840
	ds_read_b64 v[16:17], v28 offset:6144
	;; [unrolled: 1-line block ×6, first 2 shown]
	ds_read_b64 v[14:15], v38
	ds_read_b64 v[28:29], v28 offset:17664
.LBB0_12:
	s_or_b64 exec, exec, s[10:11]
	v_mul_lo_u16_e32 v0, 22, v82
	v_mul_lo_u16_sdwa v0, v0, v39 dst_sel:DWORD dst_unused:UNUSED_PAD src0_sel:BYTE_1 src1_sel:DWORD
	v_sub_u16_e32 v0, v82, v0
	v_and_b32_e32 v85, 0xff, v0
	v_mul_u32_u24_e32 v0, 7, v85
	v_lshlrev_b32_e32 v0, 3, v0
	global_load_dwordx4 v[38:41], v0, s[18:19] offset:72
	global_load_dwordx4 v[42:45], v0, s[18:19] offset:88
	;; [unrolled: 1-line block ×3, first 2 shown]
	global_load_dwordx2 v[50:51], v0, s[18:19] offset:120
	v_lshrrev_b16_e32 v0, 11, v37
	v_mul_lo_u16_e32 v0, 12, v0
	v_add_u32_e32 v86, 12, v85
	v_add_u32_e32 v87, 24, v85
	;; [unrolled: 1-line block ×3, first 2 shown]
	s_load_dwordx2 s[4:5], s[4:5], 0x8
	v_sub_u16_e32 v0, v11, v0
	v_mul_lo_u32 v11, v12, v85
	v_mul_lo_u32 v52, v12, v86
	;; [unrolled: 1-line block ×4, first 2 shown]
	v_lshlrev_b32_sdwa v55, v36, v11 dst_sel:DWORD dst_unused:UNUSED_PAD src0_sel:DWORD src1_sel:BYTE_0
	v_lshlrev_b32_sdwa v56, v36, v52 dst_sel:DWORD dst_unused:UNUSED_PAD src0_sel:DWORD src1_sel:BYTE_0
	v_lshlrev_b32_sdwa v52, v36, v52 dst_sel:DWORD dst_unused:UNUSED_PAD src0_sel:DWORD src1_sel:BYTE_1
	v_lshlrev_b32_sdwa v57, v36, v53 dst_sel:DWORD dst_unused:UNUSED_PAD src0_sel:DWORD src1_sel:BYTE_0
	v_lshlrev_b32_sdwa v53, v36, v53 dst_sel:DWORD dst_unused:UNUSED_PAD src0_sel:DWORD src1_sel:BYTE_1
	;; [unrolled: 2-line block ×3, first 2 shown]
	v_lshlrev_b32_sdwa v11, v36, v11 dst_sel:DWORD dst_unused:UNUSED_PAD src0_sel:DWORD src1_sel:BYTE_1
	s_waitcnt lgkmcnt(0)
	global_load_dwordx2 v[66:67], v55, s[4:5]
	global_load_dwordx2 v[68:69], v11, s[4:5] offset:2048
	global_load_dwordx2 v[70:71], v56, s[4:5]
	global_load_dwordx2 v[72:73], v52, s[4:5] offset:2048
	;; [unrolled: 2-line block ×4, first 2 shown]
	v_or_b32_e32 v37, 48, v85
	v_mul_lo_u32 v37, v12, v37
	v_add_u32_e32 v89, 60, v85
	v_add_u32_e32 v90, 0x48, v85
	v_add_u32_e32 v91, 0x54, v85
	v_lshlrev_b32_sdwa v59, v36, v37 dst_sel:DWORD dst_unused:UNUSED_PAD src0_sel:DWORD src1_sel:BYTE_0
	v_and_b32_e32 v0, 0xff, v0
	s_andn2_b64 vcc, exec, s[0:1]
	s_waitcnt vmcnt(11)
	v_mul_f32_e32 v52, v41, v35
	v_mul_f32_e32 v41, v41, v34
	s_waitcnt vmcnt(10)
	v_mul_f32_e32 v53, v43, v4
	v_mul_f32_e32 v43, v43, v3
	;; [unrolled: 1-line block ×3, first 2 shown]
	s_waitcnt vmcnt(9)
	v_mul_f32_e32 v56, v49, v8
	v_mul_f32_e32 v49, v49, v7
	s_waitcnt vmcnt(8)
	v_mul_f32_e32 v57, v51, v10
	v_mul_f32_e32 v51, v51, v9
	v_fmac_f32_e32 v41, v40, v35
	v_fmac_f32_e32 v43, v42, v4
	v_fma_f32 v4, v44, v32, -v54
	v_fmac_f32_e32 v49, v48, v8
	v_fmac_f32_e32 v51, v50, v10
	v_sub_f32_e32 v4, v5, v4
	v_sub_f32_e32 v10, v41, v49
	v_mul_f32_e32 v11, v39, v2
	v_mul_f32_e32 v39, v39, v1
	v_sub_f32_e32 v76, v4, v10
	v_mul_f32_e32 v45, v45, v32
	v_fmac_f32_e32 v39, v38, v2
	v_fma_f32 v2, v40, v34, -v52
	v_fma_f32 v7, v48, v7, -v56
	v_fma_f32 v5, v5, 2.0, -v4
	v_fma_f32 v113, v4, 2.0, -v76
	v_mul_lo_u32 v4, v12, v89
	v_mul_f32_e32 v55, v47, v31
	v_mul_f32_e32 v47, v47, v30
	v_fmac_f32_e32 v45, v44, v33
	v_sub_f32_e32 v7, v2, v7
	v_fma_f32 v3, v42, v3, -v53
	v_fmac_f32_e32 v47, v46, v31
	v_fma_f32 v8, v50, v9, -v57
	v_sub_f32_e32 v9, v6, v45
	v_fma_f32 v2, v2, 2.0, -v7
	v_fma_f32 v1, v38, v1, -v11
	v_fma_f32 v11, v46, v30, -v55
	v_sub_f32_e32 v30, v39, v47
	v_sub_f32_e32 v8, v3, v8
	v_add_f32_e32 v77, v9, v7
	v_sub_f32_e32 v111, v5, v2
	v_lshlrev_b32_sdwa v2, v36, v37 dst_sel:DWORD dst_unused:UNUSED_PAD src0_sel:DWORD src1_sel:BYTE_1
	v_sub_f32_e32 v11, v1, v11
	v_fma_f32 v6, v6, 2.0, -v9
	v_fma_f32 v3, v3, 2.0, -v8
	v_add_f32_e32 v80, v30, v8
	v_fma_f32 v114, v9, 2.0, -v77
	v_lshlrev_b32_sdwa v8, v36, v4 dst_sel:DWORD dst_unused:UNUSED_PAD src0_sel:DWORD src1_sel:BYTE_0
	v_lshlrev_b32_sdwa v4, v36, v4 dst_sel:DWORD dst_unused:UNUSED_PAD src0_sel:DWORD src1_sel:BYTE_1
	global_load_dwordx2 v[48:49], v59, s[4:5]
	global_load_dwordx2 v[96:97], v2, s[4:5] offset:2048
	global_load_dwordx2 v[98:99], v8, s[4:5]
	global_load_dwordx2 v[100:101], v4, s[4:5] offset:2048
	v_mul_lo_u32 v2, v12, v90
	v_mul_lo_u32 v9, v12, v91
	v_sub_f32_e32 v31, v43, v51
	v_fma_f32 v1, v1, 2.0, -v11
	v_fma_f32 v32, v41, 2.0, -v10
	;; [unrolled: 1-line block ×4, first 2 shown]
	v_sub_f32_e32 v115, v1, v3
	v_sub_f32_e32 v110, v11, v31
	;; [unrolled: 1-line block ×4, first 2 shown]
	v_fma_f32 v7, v30, 2.0, -v80
	v_fma_f32 v5, v5, 2.0, -v111
	;; [unrolled: 1-line block ×3, first 2 shown]
	v_mov_b32_e32 v119, v114
	v_fma_f32 v3, v11, 2.0, -v110
	v_fma_f32 v4, v6, 2.0, -v112
	;; [unrolled: 1-line block ×3, first 2 shown]
	v_lshlrev_b32_sdwa v8, v36, v2 dst_sel:DWORD dst_unused:UNUSED_PAD src0_sel:DWORD src1_sel:BYTE_0
	v_lshlrev_b32_sdwa v2, v36, v2 dst_sel:DWORD dst_unused:UNUSED_PAD src0_sel:DWORD src1_sel:BYTE_1
	v_mov_b32_e32 v118, v113
	v_lshlrev_b32_sdwa v10, v36, v9 dst_sel:DWORD dst_unused:UNUSED_PAD src0_sel:DWORD src1_sel:BYTE_0
	v_lshlrev_b32_sdwa v9, v36, v9 dst_sel:DWORD dst_unused:UNUSED_PAD src0_sel:DWORD src1_sel:BYTE_1
	v_sub_f32_e32 v120, v5, v1
	v_fmac_f32_e32 v119, 0xbf3504f3, v7
	global_load_dwordx2 v[102:103], v8, s[4:5]
	global_load_dwordx2 v[104:105], v2, s[4:5] offset:2048
	global_load_dwordx2 v[106:107], v10, s[4:5]
	global_load_dwordx2 v[108:109], v9, s[4:5] offset:2048
	v_sub_f32_e32 v121, v4, v6
	v_fmac_f32_e32 v118, 0xbf3504f3, v3
	v_fma_f32 v81, v5, 2.0, -v120
	v_fmac_f32_e32 v119, 0x3f3504f3, v3
	v_mul_u32_u24_e32 v1, 7, v0
	v_mul_lo_u32 v2, v12, v0
	v_add_u32_e32 v3, 12, v0
	v_add_u32_e32 v5, 24, v0
	;; [unrolled: 1-line block ×3, first 2 shown]
	v_or_b32_e32 v9, 48, v0
	v_add_u32_e32 v10, 60, v0
	v_add_u32_e32 v30, 0x48, v0
	;; [unrolled: 1-line block ×3, first 2 shown]
	v_mul_lo_u32 v3, v12, v3
	v_mul_lo_u32 v5, v12, v5
	;; [unrolled: 1-line block ×7, first 2 shown]
	v_fma_f32 v122, v4, 2.0, -v121
	v_fmac_f32_e32 v118, 0xbf3504f3, v7
	v_lshlrev_b32_e32 v123, 3, v1
	v_lshlrev_b32_sdwa v1, v36, v2 dst_sel:DWORD dst_unused:UNUSED_PAD src0_sel:DWORD src1_sel:BYTE_0
	v_lshlrev_b32_sdwa v2, v36, v2 dst_sel:DWORD dst_unused:UNUSED_PAD src0_sel:DWORD src1_sel:BYTE_1
	v_lshlrev_b32_sdwa v4, v36, v3 dst_sel:DWORD dst_unused:UNUSED_PAD src0_sel:DWORD src1_sel:BYTE_0
	v_lshlrev_b32_sdwa v3, v36, v3 dst_sel:DWORD dst_unused:UNUSED_PAD src0_sel:DWORD src1_sel:BYTE_1
	;; [unrolled: 2-line block ×8, first 2 shown]
	global_load_dwordx2 v[60:61], v1, s[4:5]
	global_load_dwordx2 v[62:63], v2, s[4:5] offset:2048
	global_load_dwordx2 v[56:57], v4, s[4:5]
	global_load_dwordx2 v[58:59], v3, s[4:5] offset:2048
	;; [unrolled: 2-line block ×7, first 2 shown]
	global_load_dwordx2 v[30:31], v65, s[4:5]
                                        ; kill: killed $vgpr10
                                        ; kill: killed $vgpr4
                                        ; kill: killed $vgpr8
                                        ; kill: killed $vgpr38
                                        ; kill: killed $vgpr65
                                        ; kill: killed $vgpr2
                                        ; kill: killed $vgpr5
                                        ; kill: killed $vgpr9
                                        ; kill: killed $vgpr1
                                        ; kill: killed $vgpr64
                                        ; kill: killed $vgpr7
                                        ; kill: killed $vgpr11
                                        ; kill: killed $vgpr39
                                        ; kill: killed $vgpr3
                                        ; kill: killed $vgpr6
	s_nop 0
	global_load_dwordx2 v[38:39], v124, s[4:5] offset:2048
	global_load_dwordx2 v[64:65], v123, s[18:19] offset:120
	global_load_dwordx4 v[0:3], v123, s[18:19] offset:104
	global_load_dwordx4 v[4:7], v123, s[18:19] offset:88
	;; [unrolled: 1-line block ×3, first 2 shown]
	v_mov_b32_e32 v117, v76
	v_fmac_f32_e32 v117, 0x3f3504f3, v110
	v_mov_b32_e32 v123, v77
	v_fmac_f32_e32 v123, 0x3f3504f3, v80
	v_fmac_f32_e32 v117, 0xbf3504f3, v80
	s_waitcnt vmcnt(34)
	v_mul_f32_e32 v80, v67, v69
	v_fma_f32 v124, v66, v68, -v80
	v_mul_f32_e32 v66, v66, v69
	v_fmac_f32_e32 v66, v67, v68
	v_mul_f32_e32 v67, v122, v66
	v_fma_f32 v80, v81, v124, -v67
	v_fma_f32 v67, v114, 2.0, -v119
	v_add_f32_e32 v114, v112, v115
	v_fmac_f32_e32 v123, 0x3f3504f3, v110
	v_fma_f32 v110, v76, 2.0, -v117
	s_waitcnt vmcnt(32)
	v_mul_f32_e32 v76, v71, v73
	v_fma_f32 v69, v112, 2.0, -v114
	v_fma_f32 v112, v70, v72, -v76
	v_mul_f32_e32 v70, v70, v73
	v_mul_f32_e32 v81, v81, v66
	v_fma_f32 v66, v113, 2.0, -v118
	v_sub_f32_e32 v113, v111, v116
	v_fmac_f32_e32 v70, v71, v72
	v_fma_f32 v68, v111, 2.0, -v113
	v_fma_f32 v111, v77, 2.0, -v123
	v_mul_f32_e32 v77, v66, v70
	v_mul_f32_e32 v71, v67, v70
	v_fmac_f32_e32 v77, v67, v112
	s_waitcnt vmcnt(30)
	v_mul_f32_e32 v67, v74, v79
	v_fma_f32 v76, v66, v112, -v71
	v_mul_f32_e32 v66, v75, v79
	v_fmac_f32_e32 v67, v75, v78
	v_fma_f32 v66, v74, v78, -v66
	v_mul_f32_e32 v70, v69, v67
	v_fma_f32 v78, v68, v66, -v70
	v_mul_f32_e32 v79, v68, v67
	s_waitcnt vmcnt(28)
	v_mul_f32_e32 v67, v92, v95
	s_waitcnt vmcnt(26)
	v_mul_f32_e32 v68, v49, v97
	v_fmac_f32_e32 v79, v69, v66
	v_mul_f32_e32 v66, v93, v95
	v_fmac_f32_e32 v67, v93, v94
	v_fma_f32 v68, v48, v96, -v68
	v_mul_f32_e32 v48, v48, v97
	v_fma_f32 v66, v92, v94, -v66
	v_fmac_f32_e32 v48, v49, v96
	v_mul_f32_e32 v49, v111, v67
	v_fma_f32 v74, v110, v66, -v49
	v_mul_f32_e32 v49, v121, v48
	v_fma_f32 v72, v120, v68, -v49
	s_waitcnt vmcnt(24)
	v_mul_f32_e32 v49, v98, v101
	v_mul_f32_e32 v75, v110, v67
	;; [unrolled: 1-line block ×4, first 2 shown]
	v_fmac_f32_e32 v49, v99, v100
	v_fmac_f32_e32 v75, v111, v66
	v_fma_f32 v48, v98, v100, -v48
	v_mul_f32_e32 v66, v119, v49
	v_mul_f32_e32 v69, v118, v49
	s_waitcnt vmcnt(22)
	v_mul_f32_e32 v49, v102, v105
	v_fmac_f32_e32 v73, v121, v68
	v_fma_f32 v68, v118, v48, -v66
	v_fmac_f32_e32 v69, v119, v48
	v_mul_f32_e32 v48, v103, v105
	v_fmac_f32_e32 v49, v103, v104
	v_fma_f32 v48, v102, v104, -v48
	v_mul_f32_e32 v66, v114, v49
	v_mul_f32_e32 v71, v113, v49
	s_waitcnt vmcnt(20)
	v_mul_f32_e32 v49, v106, v109
	v_fma_f32 v70, v113, v48, -v66
	v_fmac_f32_e32 v71, v114, v48
	v_mul_f32_e32 v48, v107, v109
	v_fmac_f32_e32 v49, v107, v108
	v_fma_f32 v48, v106, v108, -v48
	v_mul_f32_e32 v66, v123, v49
	v_mul_f32_e32 v67, v117, v49
	v_fmac_f32_e32 v81, v122, v124
	v_fma_f32 v66, v117, v48, -v66
	v_fmac_f32_e32 v67, v123, v48
	s_cbranch_vccnz .LBB0_14
; %bb.13:
	v_mad_u64_u32 v[48:49], s[0:1], s8, v84, 0
	v_mad_u64_u32 v[92:93], s[0:1], s12, v85, 0
	s_waitcnt vmcnt(12)
	v_mad_u64_u32 v[94:95], s[0:1], s9, v84, v[49:50]
	v_mov_b32_e32 v49, v93
	v_mad_u64_u32 v[95:96], s[0:1], s13, v85, v[49:50]
	s_lshl_b64 s[0:1], s[6:7], 3
	s_add_u32 s4, s14, s0
	s_addc_u32 s0, s15, s1
	v_mov_b32_e32 v49, v94
	v_mov_b32_e32 v93, v95
	;; [unrolled: 1-line block ×3, first 2 shown]
	v_mad_u64_u32 v[94:95], s[0:1], s12, v86, 0
	v_lshlrev_b64 v[48:49], 3, v[48:49]
	v_lshlrev_b64 v[92:93], 3, v[92:93]
	v_add_co_u32_e32 v48, vcc, s4, v48
	v_addc_co_u32_e32 v49, vcc, v96, v49, vcc
	v_mad_u64_u32 v[95:96], s[0:1], s13, v86, v[95:96]
	v_add_co_u32_e32 v92, vcc, v48, v92
	v_addc_co_u32_e32 v93, vcc, v49, v93, vcc
	global_store_dwordx2 v[92:93], v[80:81], off
	v_lshlrev_b64 v[92:93], 3, v[94:95]
	v_mad_u64_u32 v[94:95], s[0:1], s12, v87, 0
	v_add_co_u32_e32 v92, vcc, v48, v92
	v_mad_u64_u32 v[95:96], s[0:1], s13, v87, v[95:96]
	v_mad_u64_u32 v[96:97], s[0:1], s12, v88, 0
	v_addc_co_u32_e32 v93, vcc, v49, v93, vcc
	global_store_dwordx2 v[92:93], v[76:77], off
	v_lshlrev_b64 v[92:93], 3, v[94:95]
	v_mov_b32_e32 v94, v97
	v_mad_u64_u32 v[94:95], s[0:1], s13, v88, v[94:95]
	v_add_co_u32_e32 v92, vcc, v48, v92
	v_addc_co_u32_e32 v93, vcc, v49, v93, vcc
	v_mov_b32_e32 v97, v94
	global_store_dwordx2 v[92:93], v[78:79], off
	v_lshlrev_b64 v[92:93], 3, v[96:97]
	v_add_u32_e32 v96, 48, v85
	v_mad_u64_u32 v[94:95], s[0:1], s12, v96, 0
	v_add_co_u32_e32 v92, vcc, v48, v92
	v_mad_u64_u32 v[95:96], s[0:1], s13, v96, v[95:96]
	v_mad_u64_u32 v[96:97], s[0:1], s12, v89, 0
	v_addc_co_u32_e32 v93, vcc, v49, v93, vcc
	global_store_dwordx2 v[92:93], v[74:75], off
	v_lshlrev_b64 v[92:93], 3, v[94:95]
	v_mov_b32_e32 v94, v97
	v_mad_u64_u32 v[94:95], s[0:1], s13, v89, v[94:95]
	v_add_co_u32_e32 v92, vcc, v48, v92
	v_mov_b32_e32 v97, v94
	v_mad_u64_u32 v[94:95], s[0:1], s12, v90, 0
	v_addc_co_u32_e32 v93, vcc, v49, v93, vcc
	global_store_dwordx2 v[92:93], v[72:73], off
	v_lshlrev_b64 v[92:93], 3, v[96:97]
	v_mad_u64_u32 v[95:96], s[0:1], s13, v90, v[95:96]
	v_mad_u64_u32 v[96:97], s[0:1], s12, v91, 0
	v_add_co_u32_e32 v92, vcc, v48, v92
	v_mov_b32_e32 v90, v97
	v_addc_co_u32_e32 v93, vcc, v49, v93, vcc
	v_mad_u64_u32 v[90:91], s[0:1], s13, v91, v[90:91]
	global_store_dwordx2 v[92:93], v[68:69], off
	v_lshlrev_b64 v[92:93], 3, v[94:95]
	v_mov_b32_e32 v97, v90
	v_add_co_u32_e32 v91, vcc, v48, v92
	v_addc_co_u32_e32 v92, vcc, v49, v93, vcc
	global_store_dwordx2 v[91:92], v[70:71], off
	v_lshlrev_b64 v[90:91], 3, v[96:97]
	v_add_co_u32_e32 v90, vcc, v48, v90
	v_addc_co_u32_e32 v91, vcc, v49, v91, vcc
	s_and_b64 s[0:1], s[2:3], exec
	global_store_dwordx2 v[90:91], v[66:67], off
	s_cbranch_execz .LBB0_15
	s_branch .LBB0_18
.LBB0_14:
	s_mov_b64 s[0:1], 0
                                        ; implicit-def: $vgpr48_vgpr49
.LBB0_15:
	v_cmp_gt_u64_e32 vcc, s[16:17], v[12:13]
                                        ; implicit-def: $vgpr48_vgpr49
	s_and_saveexec_b64 s[4:5], vcc
	s_cbranch_execz .LBB0_17
; %bb.16:
	v_mad_u64_u32 v[12:13], s[10:11], s8, v84, 0
	v_mad_u64_u32 v[90:91], s[10:11], s12, v85, 0
	v_mad_u64_u32 v[48:49], s[8:9], s9, v84, v[13:14]
	v_mov_b32_e32 v13, v91
	v_mad_u64_u32 v[91:92], s[8:9], s13, v85, v[13:14]
	v_mov_b32_e32 v13, v48
	s_lshl_b64 s[6:7], s[6:7], 3
	s_add_u32 s8, s14, s6
	v_lshlrev_b64 v[12:13], 3, v[12:13]
	s_addc_u32 s6, s15, s7
	v_mov_b32_e32 v49, s6
	v_mad_u64_u32 v[92:93], s[6:7], s12, v86, 0
	v_add_co_u32_e32 v48, vcc, s8, v12
	v_addc_co_u32_e32 v49, vcc, v49, v13, vcc
	v_lshlrev_b64 v[12:13], 3, v[90:91]
	v_mov_b32_e32 v84, v93
	v_add_co_u32_e32 v12, vcc, v48, v12
	v_addc_co_u32_e32 v13, vcc, v49, v13, vcc
	v_mad_u64_u32 v[90:91], s[6:7], s13, v86, v[84:85]
	global_store_dwordx2 v[12:13], v[80:81], off
	v_mad_u64_u32 v[80:81], s[6:7], s12, v87, 0
	v_mov_b32_e32 v93, v90
	v_lshlrev_b64 v[12:13], 3, v[92:93]
	v_mad_u64_u32 v[86:87], s[6:7], s13, v87, v[81:82]
	v_mad_u64_u32 v[90:91], s[6:7], s12, v88, 0
	v_add_co_u32_e32 v12, vcc, v48, v12
	v_addc_co_u32_e32 v13, vcc, v49, v13, vcc
	v_mov_b32_e32 v81, v86
	global_store_dwordx2 v[12:13], v[76:77], off
	v_lshlrev_b64 v[12:13], 3, v[80:81]
	v_mov_b32_e32 v76, v91
	v_mad_u64_u32 v[76:77], s[6:7], s13, v88, v[76:77]
	v_add_co_u32_e32 v12, vcc, v48, v12
	v_addc_co_u32_e32 v13, vcc, v49, v13, vcc
	global_store_dwordx2 v[12:13], v[78:79], off
	v_add_u32_e32 v78, 48, v85
	v_mov_b32_e32 v91, v76
	v_mad_u64_u32 v[76:77], s[6:7], s12, v78, 0
	v_lshlrev_b64 v[12:13], 3, v[90:91]
	s_andn2_b64 s[0:1], s[0:1], exec
	v_mad_u64_u32 v[77:78], s[6:7], s13, v78, v[77:78]
	v_mad_u64_u32 v[78:79], s[6:7], s12, v89, 0
	v_add_co_u32_e32 v12, vcc, v48, v12
	v_addc_co_u32_e32 v13, vcc, v49, v13, vcc
	global_store_dwordx2 v[12:13], v[74:75], off
	v_mov_b32_e32 v74, v79
	v_mad_u64_u32 v[74:75], s[6:7], s13, v89, v[74:75]
	v_lshlrev_b64 v[12:13], 3, v[76:77]
	v_add_u32_e32 v76, 0x54, v85
	v_add_co_u32_e32 v12, vcc, v48, v12
	v_addc_co_u32_e32 v13, vcc, v49, v13, vcc
	v_mov_b32_e32 v79, v74
	v_add_u32_e32 v74, 0x48, v85
	global_store_dwordx2 v[12:13], v[72:73], off
	v_mad_u64_u32 v[72:73], s[6:7], s12, v74, 0
	v_lshlrev_b64 v[12:13], 3, v[78:79]
	s_and_b64 s[2:3], s[2:3], exec
	v_mad_u64_u32 v[73:74], s[6:7], s13, v74, v[73:74]
	v_mad_u64_u32 v[74:75], s[6:7], s12, v76, 0
	v_add_co_u32_e32 v12, vcc, v48, v12
	v_addc_co_u32_e32 v13, vcc, v49, v13, vcc
	global_store_dwordx2 v[12:13], v[68:69], off
	v_mov_b32_e32 v68, v75
	v_mad_u64_u32 v[68:69], s[6:7], s13, v76, v[68:69]
	v_lshlrev_b64 v[12:13], 3, v[72:73]
	s_or_b64 s[0:1], s[0:1], s[2:3]
	v_add_co_u32_e32 v12, vcc, v48, v12
	v_addc_co_u32_e32 v13, vcc, v49, v13, vcc
	v_mov_b32_e32 v75, v68
	global_store_dwordx2 v[12:13], v[70:71], off
	v_lshlrev_b64 v[12:13], 3, v[74:75]
	v_add_co_u32_e32 v12, vcc, v48, v12
	v_addc_co_u32_e32 v13, vcc, v49, v13, vcc
	global_store_dwordx2 v[12:13], v[66:67], off
.LBB0_17:
	s_or_b64 exec, exec, s[4:5]
.LBB0_18:
	s_and_saveexec_b64 s[2:3], s[0:1]
	s_cbranch_execnz .LBB0_20
; %bb.19:
	s_endpgm
.LBB0_20:
	s_waitcnt vmcnt(0)
	v_mul_f32_e32 v12, v21, v9
	v_mul_f32_e32 v9, v20, v9
	v_fma_f32 v12, v20, v8, -v12
	v_fmac_f32_e32 v9, v21, v8
	v_mul_f32_e32 v8, v17, v11
	v_mul_f32_e32 v11, v16, v11
	v_fma_f32 v8, v16, v10, -v8
	v_fmac_f32_e32 v11, v17, v10
	;; [unrolled: 4-line block ×7, first 2 shown]
	v_sub_f32_e32 v4, v14, v4
	v_sub_f32_e32 v7, v15, v7
	;; [unrolled: 1-line block ×8, first 2 shown]
	v_fma_f32 v14, v14, 2.0, -v4
	v_fma_f32 v15, v15, 2.0, -v7
	;; [unrolled: 1-line block ×8, first 2 shown]
	v_sub_f32_e32 v8, v14, v8
	v_sub_f32_e32 v11, v15, v11
	;; [unrolled: 1-line block ×4, first 2 shown]
	v_fma_f32 v14, v14, 2.0, -v8
	v_fma_f32 v15, v15, 2.0, -v11
	v_sub_f32_e32 v3, v4, v3
	v_fma_f32 v12, v12, 2.0, -v10
	v_fma_f32 v9, v9, 2.0, -v5
	v_add_f32_e32 v0, v7, v0
	v_fma_f32 v4, v4, 2.0, -v3
	v_sub_f32_e32 v13, v6, v13
	v_sub_f32_e32 v12, v14, v12
	;; [unrolled: 1-line block ×3, first 2 shown]
	v_fma_f32 v7, v7, 2.0, -v0
	v_add_f32_e32 v2, v1, v2
	v_fma_f32 v6, v6, 2.0, -v13
	v_fma_f32 v9, v14, 2.0, -v12
	;; [unrolled: 1-line block ×3, first 2 shown]
	v_mov_b32_e32 v15, v4
	v_mov_b32_e32 v21, v0
	v_fma_f32 v1, v1, 2.0, -v2
	v_fmac_f32_e32 v15, 0xbf3504f3, v6
	v_mov_b32_e32 v17, v7
	v_mov_b32_e32 v20, v3
	v_fmac_f32_e32 v21, 0x3f3504f3, v2
	v_fmac_f32_e32 v17, 0xbf3504f3, v1
	;; [unrolled: 1-line block ×5, first 2 shown]
	v_mul_f32_e32 v1, v60, v63
	v_sub_f32_e32 v18, v8, v5
	v_add_f32_e32 v19, v11, v10
	v_fmac_f32_e32 v20, 0xbf3504f3, v2
	v_fma_f32 v10, v0, 2.0, -v21
	v_mul_f32_e32 v0, v61, v63
	v_fmac_f32_e32 v1, v61, v62
	v_fmac_f32_e32 v17, 0x3f3504f3, v6
	v_fma_f32 v5, v8, 2.0, -v18
	v_fma_f32 v8, v3, 2.0, -v20
	v_fma_f32 v2, v60, v62, -v0
	v_mul_f32_e32 v0, v14, v1
	v_mul_f32_e32 v1, v9, v1
	;; [unrolled: 1-line block ×3, first 2 shown]
	v_fma_f32 v4, v4, 2.0, -v15
	v_fma_f32 v6, v7, 2.0, -v17
	v_fma_f32 v0, v9, v2, -v0
	v_fmac_f32_e32 v1, v14, v2
	v_mul_f32_e32 v2, v57, v59
	v_fmac_f32_e32 v3, v57, v58
	v_fma_f32 v9, v56, v58, -v2
	v_mul_f32_e32 v2, v6, v3
	v_mul_f32_e32 v3, v4, v3
	v_fma_f32 v2, v4, v9, -v2
	v_fmac_f32_e32 v3, v6, v9
	v_mul_f32_e32 v9, v52, v55
	v_fma_f32 v7, v11, 2.0, -v19
	v_mul_f32_e32 v4, v53, v55
	v_fmac_f32_e32 v9, v53, v54
	v_fma_f32 v6, v52, v54, -v4
	v_mul_f32_e32 v4, v7, v9
	v_fma_f32 v4, v5, v6, -v4
	v_mul_f32_e32 v5, v5, v9
	v_fmac_f32_e32 v5, v7, v6
	v_mul_f32_e32 v7, v46, v51
	v_mul_f32_e32 v6, v47, v51
	v_fmac_f32_e32 v7, v47, v50
	v_fma_f32 v9, v46, v50, -v6
	v_mul_f32_e32 v6, v10, v7
	v_mul_f32_e32 v7, v8, v7
	v_fma_f32 v6, v8, v9, -v6
	v_fmac_f32_e32 v7, v10, v9
	v_mul_f32_e32 v9, v42, v45
	v_mul_f32_e32 v8, v43, v45
	v_fmac_f32_e32 v9, v43, v44
	v_fma_f32 v10, v42, v44, -v8
	v_mul_f32_e32 v8, v16, v9
	v_mul_f32_e32 v9, v12, v9
	v_mul_f32_e32 v11, v36, v41
	v_fma_f32 v8, v12, v10, -v8
	v_fmac_f32_e32 v9, v16, v10
	v_mul_f32_e32 v10, v37, v41
	v_fmac_f32_e32 v11, v37, v40
	v_fma_f32 v12, v36, v40, -v10
	v_mul_f32_e32 v10, v17, v11
	v_mul_f32_e32 v11, v15, v11
	;; [unrolled: 1-line block ×3, first 2 shown]
	v_fma_f32 v10, v15, v12, -v10
	v_fmac_f32_e32 v11, v17, v12
	v_mul_f32_e32 v12, v33, v35
	v_fmac_f32_e32 v13, v33, v34
	v_fma_f32 v14, v32, v34, -v12
	v_mul_f32_e32 v12, v19, v13
	v_mul_f32_e32 v13, v18, v13
	v_fma_f32 v12, v18, v14, -v12
	v_fmac_f32_e32 v13, v19, v14
	v_mul_f32_e32 v14, v31, v39
	v_or_b32_e32 v18, 8, v82
	v_fma_f32 v22, v30, v38, -v14
	v_mul_f32_e32 v17, v30, v39
	v_mad_u64_u32 v[14:15], s[0:1], s12, v18, 0
	v_fmac_f32_e32 v17, v31, v38
	v_mul_f32_e32 v16, v21, v17
	v_fma_f32 v16, v20, v22, -v16
	v_mad_u64_u32 v[18:19], s[0:1], s13, v18, v[15:16]
	v_add_u32_e32 v23, 20, v82
	v_mul_f32_e32 v17, v20, v17
	v_mad_u64_u32 v[19:20], s[0:1], s12, v23, 0
	v_mov_b32_e32 v15, v18
	v_lshlrev_b64 v[14:15], 3, v[14:15]
	v_mov_b32_e32 v18, v20
	v_add_co_u32_e32 v14, vcc, v48, v14
	v_addc_co_u32_e32 v15, vcc, v49, v15, vcc
	v_fmac_f32_e32 v17, v21, v22
	v_mad_u64_u32 v[20:21], s[0:1], s13, v23, v[18:19]
	global_store_dwordx2 v[14:15], v[0:1], off
	v_mad_u64_u32 v[14:15], s[0:1], s12, v83, 0
	v_lshlrev_b64 v[0:1], 3, v[19:20]
	v_add_u32_e32 v21, 44, v82
	v_mad_u64_u32 v[18:19], s[0:1], s13, v83, v[15:16]
	v_mad_u64_u32 v[19:20], s[0:1], s12, v21, 0
	v_add_co_u32_e32 v0, vcc, v48, v0
	v_addc_co_u32_e32 v1, vcc, v49, v1, vcc
	v_mov_b32_e32 v15, v18
	global_store_dwordx2 v[0:1], v[2:3], off
	v_lshlrev_b64 v[0:1], 3, v[14:15]
	v_mov_b32_e32 v2, v20
	v_mad_u64_u32 v[2:3], s[0:1], s13, v21, v[2:3]
	v_add_co_u32_e32 v0, vcc, v48, v0
	v_addc_co_u32_e32 v1, vcc, v49, v1, vcc
	global_store_dwordx2 v[0:1], v[4:5], off
	v_or_b32_e32 v4, 56, v82
	v_mov_b32_e32 v20, v2
	v_mad_u64_u32 v[2:3], s[0:1], s12, v4, 0
	v_add_u32_e32 v14, 0x44, v82
	v_lshlrev_b64 v[0:1], 3, v[19:20]
	v_mad_u64_u32 v[3:4], s[0:1], s13, v4, v[3:4]
	v_mad_u64_u32 v[4:5], s[0:1], s12, v14, 0
	v_add_co_u32_e32 v0, vcc, v48, v0
	v_addc_co_u32_e32 v1, vcc, v49, v1, vcc
	global_store_dwordx2 v[0:1], v[6:7], off
	v_lshlrev_b64 v[0:1], 3, v[2:3]
	v_mov_b32_e32 v2, v5
	v_mad_u64_u32 v[2:3], s[0:1], s13, v14, v[2:3]
	v_add_co_u32_e32 v0, vcc, v48, v0
	v_addc_co_u32_e32 v1, vcc, v49, v1, vcc
	v_mov_b32_e32 v5, v2
	global_store_dwordx2 v[0:1], v[8:9], off
	v_lshlrev_b64 v[0:1], 3, v[4:5]
	v_or_b32_e32 v4, 0x50, v82
	v_mad_u64_u32 v[2:3], s[0:1], s12, v4, 0
	v_add_u32_e32 v6, 0x5c, v82
	v_add_co_u32_e32 v0, vcc, v48, v0
	v_mad_u64_u32 v[3:4], s[0:1], s13, v4, v[3:4]
	v_mad_u64_u32 v[4:5], s[0:1], s12, v6, 0
	v_addc_co_u32_e32 v1, vcc, v49, v1, vcc
	global_store_dwordx2 v[0:1], v[10:11], off
	v_lshlrev_b64 v[0:1], 3, v[2:3]
	v_mov_b32_e32 v2, v5
	v_mad_u64_u32 v[2:3], s[0:1], s13, v6, v[2:3]
	v_add_co_u32_e32 v0, vcc, v48, v0
	v_addc_co_u32_e32 v1, vcc, v49, v1, vcc
	v_mov_b32_e32 v5, v2
	global_store_dwordx2 v[0:1], v[12:13], off
	v_lshlrev_b64 v[0:1], 3, v[4:5]
	v_add_co_u32_e32 v0, vcc, v48, v0
	v_addc_co_u32_e32 v1, vcc, v49, v1, vcc
	global_store_dwordx2 v[0:1], v[16:17], off
	s_endpgm
	.section	.rodata,"a",@progbits
	.p2align	6, 0x0
	.amdhsa_kernel fft_rtc_fwd_len96_factors_3_4_8_wgs_192_tpt_8_dim2_sp_ip_CI_sbcc_twdbase8_2step_dirReg
		.amdhsa_group_segment_fixed_size 0
		.amdhsa_private_segment_fixed_size 0
		.amdhsa_kernarg_size 88
		.amdhsa_user_sgpr_count 6
		.amdhsa_user_sgpr_private_segment_buffer 1
		.amdhsa_user_sgpr_dispatch_ptr 0
		.amdhsa_user_sgpr_queue_ptr 0
		.amdhsa_user_sgpr_kernarg_segment_ptr 1
		.amdhsa_user_sgpr_dispatch_id 0
		.amdhsa_user_sgpr_flat_scratch_init 0
		.amdhsa_user_sgpr_private_segment_size 0
		.amdhsa_uses_dynamic_stack 0
		.amdhsa_system_sgpr_private_segment_wavefront_offset 0
		.amdhsa_system_sgpr_workgroup_id_x 1
		.amdhsa_system_sgpr_workgroup_id_y 0
		.amdhsa_system_sgpr_workgroup_id_z 0
		.amdhsa_system_sgpr_workgroup_info 0
		.amdhsa_system_vgpr_workitem_id 0
		.amdhsa_next_free_vgpr 125
		.amdhsa_next_free_sgpr 24
		.amdhsa_reserve_vcc 1
		.amdhsa_reserve_flat_scratch 0
		.amdhsa_float_round_mode_32 0
		.amdhsa_float_round_mode_16_64 0
		.amdhsa_float_denorm_mode_32 3
		.amdhsa_float_denorm_mode_16_64 3
		.amdhsa_dx10_clamp 1
		.amdhsa_ieee_mode 1
		.amdhsa_fp16_overflow 0
		.amdhsa_exception_fp_ieee_invalid_op 0
		.amdhsa_exception_fp_denorm_src 0
		.amdhsa_exception_fp_ieee_div_zero 0
		.amdhsa_exception_fp_ieee_overflow 0
		.amdhsa_exception_fp_ieee_underflow 0
		.amdhsa_exception_fp_ieee_inexact 0
		.amdhsa_exception_int_div_zero 0
	.end_amdhsa_kernel
	.text
.Lfunc_end0:
	.size	fft_rtc_fwd_len96_factors_3_4_8_wgs_192_tpt_8_dim2_sp_ip_CI_sbcc_twdbase8_2step_dirReg, .Lfunc_end0-fft_rtc_fwd_len96_factors_3_4_8_wgs_192_tpt_8_dim2_sp_ip_CI_sbcc_twdbase8_2step_dirReg
                                        ; -- End function
	.section	.AMDGPU.csdata,"",@progbits
; Kernel info:
; codeLenInByte = 7436
; NumSgprs: 28
; NumVgprs: 125
; ScratchSize: 0
; MemoryBound: 0
; FloatMode: 240
; IeeeMode: 1
; LDSByteSize: 0 bytes/workgroup (compile time only)
; SGPRBlocks: 3
; VGPRBlocks: 31
; NumSGPRsForWavesPerEU: 28
; NumVGPRsForWavesPerEU: 125
; Occupancy: 2
; WaveLimiterHint : 1
; COMPUTE_PGM_RSRC2:SCRATCH_EN: 0
; COMPUTE_PGM_RSRC2:USER_SGPR: 6
; COMPUTE_PGM_RSRC2:TRAP_HANDLER: 0
; COMPUTE_PGM_RSRC2:TGID_X_EN: 1
; COMPUTE_PGM_RSRC2:TGID_Y_EN: 0
; COMPUTE_PGM_RSRC2:TGID_Z_EN: 0
; COMPUTE_PGM_RSRC2:TIDIG_COMP_CNT: 0
	.type	__hip_cuid_b389e950af3600f5,@object ; @__hip_cuid_b389e950af3600f5
	.section	.bss,"aw",@nobits
	.globl	__hip_cuid_b389e950af3600f5
__hip_cuid_b389e950af3600f5:
	.byte	0                               ; 0x0
	.size	__hip_cuid_b389e950af3600f5, 1

	.ident	"AMD clang version 19.0.0git (https://github.com/RadeonOpenCompute/llvm-project roc-6.4.0 25133 c7fe45cf4b819c5991fe208aaa96edf142730f1d)"
	.section	".note.GNU-stack","",@progbits
	.addrsig
	.addrsig_sym __hip_cuid_b389e950af3600f5
	.amdgpu_metadata
---
amdhsa.kernels:
  - .args:
      - .actual_access:  read_only
        .address_space:  global
        .offset:         0
        .size:           8
        .value_kind:     global_buffer
      - .address_space:  global
        .offset:         8
        .size:           8
        .value_kind:     global_buffer
      - .actual_access:  read_only
        .address_space:  global
        .offset:         16
        .size:           8
        .value_kind:     global_buffer
      - .actual_access:  read_only
        .address_space:  global
        .offset:         24
        .size:           8
        .value_kind:     global_buffer
      - .offset:         32
        .size:           8
        .value_kind:     by_value
      - .actual_access:  read_only
        .address_space:  global
        .offset:         40
        .size:           8
        .value_kind:     global_buffer
      - .actual_access:  read_only
        .address_space:  global
        .offset:         48
        .size:           8
        .value_kind:     global_buffer
      - .offset:         56
        .size:           4
        .value_kind:     by_value
      - .actual_access:  read_only
        .address_space:  global
        .offset:         64
        .size:           8
        .value_kind:     global_buffer
      - .actual_access:  read_only
        .address_space:  global
        .offset:         72
        .size:           8
        .value_kind:     global_buffer
      - .address_space:  global
        .offset:         80
        .size:           8
        .value_kind:     global_buffer
    .group_segment_fixed_size: 0
    .kernarg_segment_align: 8
    .kernarg_segment_size: 88
    .language:       OpenCL C
    .language_version:
      - 2
      - 0
    .max_flat_workgroup_size: 192
    .name:           fft_rtc_fwd_len96_factors_3_4_8_wgs_192_tpt_8_dim2_sp_ip_CI_sbcc_twdbase8_2step_dirReg
    .private_segment_fixed_size: 0
    .sgpr_count:     28
    .sgpr_spill_count: 0
    .symbol:         fft_rtc_fwd_len96_factors_3_4_8_wgs_192_tpt_8_dim2_sp_ip_CI_sbcc_twdbase8_2step_dirReg.kd
    .uniform_work_group_size: 1
    .uses_dynamic_stack: false
    .vgpr_count:     125
    .vgpr_spill_count: 0
    .wavefront_size: 64
amdhsa.target:   amdgcn-amd-amdhsa--gfx906
amdhsa.version:
  - 1
  - 2
...

	.end_amdgpu_metadata
